;; amdgpu-corpus repo=llvm/llvm-project kind=harvested arch=n/a opt=n/a
// NOTE: Assertions have been autogenerated by utils/update_mc_test_checks.py UTC_ARGS: --unique --sort --version 6
// RUN: not llvm-mc -triple=amdgcn -mcpu=gfx942 %s -filetype=null 2>&1 | FileCheck --check-prefixes=CHECK --implicit-check-not=error: %s

buffer_store_lds_dword s[4:7], -1 offset:4095 lds
// CHECK: :[[@LINE-1]]:1: error: instruction not supported on this GPU (gfx942): buffer_store_lds_dword

buffer_wbinvl1
// CHECK: :[[@LINE-1]]:1: error: instruction not supported on this GPU (gfx942): buffer_wbinvl1

buffer_wbinvl1_vol
// CHECK: :[[@LINE-1]]:1: error: instruction not supported on this GPU (gfx942): buffer_wbinvl1_vol

